;; amdgpu-corpus repo=ROCm/rocFFT kind=compiled arch=gfx1030 opt=O3
	.text
	.amdgcn_target "amdgcn-amd-amdhsa--gfx1030"
	.amdhsa_code_object_version 6
	.protected	fft_rtc_back_len1568_factors_2_2_2_2_2_7_7_wgs_224_tpt_224_halfLds_half_ip_CI_sbrr_dirReg ; -- Begin function fft_rtc_back_len1568_factors_2_2_2_2_2_7_7_wgs_224_tpt_224_halfLds_half_ip_CI_sbrr_dirReg
	.globl	fft_rtc_back_len1568_factors_2_2_2_2_2_7_7_wgs_224_tpt_224_halfLds_half_ip_CI_sbrr_dirReg
	.p2align	8
	.type	fft_rtc_back_len1568_factors_2_2_2_2_2_7_7_wgs_224_tpt_224_halfLds_half_ip_CI_sbrr_dirReg,@function
fft_rtc_back_len1568_factors_2_2_2_2_2_7_7_wgs_224_tpt_224_halfLds_half_ip_CI_sbrr_dirReg: ; @fft_rtc_back_len1568_factors_2_2_2_2_2_7_7_wgs_224_tpt_224_halfLds_half_ip_CI_sbrr_dirReg
; %bb.0:
	s_clause 0x2
	s_load_dwordx2 s[14:15], s[4:5], 0x18
	s_load_dwordx4 s[8:11], s[4:5], 0x0
	s_load_dwordx2 s[2:3], s[4:5], 0x50
	v_mul_u32_u24_e32 v1, 0x125, v0
	v_mov_b32_e32 v3, 0
	v_add_nc_u32_sdwa v5, s6, v1 dst_sel:DWORD dst_unused:UNUSED_PAD src0_sel:DWORD src1_sel:WORD_1
	v_mov_b32_e32 v1, 0
	v_mov_b32_e32 v6, v3
	v_mov_b32_e32 v2, 0
	s_waitcnt lgkmcnt(0)
	s_load_dwordx2 s[12:13], s[14:15], 0x0
	v_cmp_lt_u64_e64 s0, s[10:11], 2
	s_and_b32 vcc_lo, exec_lo, s0
	s_cbranch_vccnz .LBB0_8
; %bb.1:
	s_load_dwordx2 s[0:1], s[4:5], 0x10
	v_mov_b32_e32 v1, 0
	s_add_u32 s6, s14, 8
	v_mov_b32_e32 v2, 0
	s_addc_u32 s7, s15, 0
	s_mov_b64 s[18:19], 1
	s_waitcnt lgkmcnt(0)
	s_add_u32 s16, s0, 8
	s_addc_u32 s17, s1, 0
.LBB0_2:                                ; =>This Inner Loop Header: Depth=1
	s_load_dwordx2 s[20:21], s[16:17], 0x0
                                        ; implicit-def: $vgpr7_vgpr8
	s_mov_b32 s0, exec_lo
	s_waitcnt lgkmcnt(0)
	v_or_b32_e32 v4, s21, v6
	v_cmpx_ne_u64_e32 0, v[3:4]
	s_xor_b32 s1, exec_lo, s0
	s_cbranch_execz .LBB0_4
; %bb.3:                                ;   in Loop: Header=BB0_2 Depth=1
	v_cvt_f32_u32_e32 v4, s20
	v_cvt_f32_u32_e32 v7, s21
	s_sub_u32 s0, 0, s20
	s_subb_u32 s22, 0, s21
	v_fmac_f32_e32 v4, 0x4f800000, v7
	v_rcp_f32_e32 v4, v4
	v_mul_f32_e32 v4, 0x5f7ffffc, v4
	v_mul_f32_e32 v7, 0x2f800000, v4
	v_trunc_f32_e32 v7, v7
	v_fmac_f32_e32 v4, 0xcf800000, v7
	v_cvt_u32_f32_e32 v7, v7
	v_cvt_u32_f32_e32 v4, v4
	v_mul_lo_u32 v8, s0, v7
	v_mul_hi_u32 v9, s0, v4
	v_mul_lo_u32 v10, s22, v4
	v_add_nc_u32_e32 v8, v9, v8
	v_mul_lo_u32 v9, s0, v4
	v_add_nc_u32_e32 v8, v8, v10
	v_mul_hi_u32 v10, v4, v9
	v_mul_lo_u32 v11, v4, v8
	v_mul_hi_u32 v12, v4, v8
	v_mul_hi_u32 v13, v7, v9
	v_mul_lo_u32 v9, v7, v9
	v_mul_hi_u32 v14, v7, v8
	v_mul_lo_u32 v8, v7, v8
	v_add_co_u32 v10, vcc_lo, v10, v11
	v_add_co_ci_u32_e32 v11, vcc_lo, 0, v12, vcc_lo
	v_add_co_u32 v9, vcc_lo, v10, v9
	v_add_co_ci_u32_e32 v9, vcc_lo, v11, v13, vcc_lo
	v_add_co_ci_u32_e32 v10, vcc_lo, 0, v14, vcc_lo
	v_add_co_u32 v8, vcc_lo, v9, v8
	v_add_co_ci_u32_e32 v9, vcc_lo, 0, v10, vcc_lo
	v_add_co_u32 v4, vcc_lo, v4, v8
	v_add_co_ci_u32_e32 v7, vcc_lo, v7, v9, vcc_lo
	v_mul_hi_u32 v8, s0, v4
	v_mul_lo_u32 v10, s22, v4
	v_mul_lo_u32 v9, s0, v7
	v_add_nc_u32_e32 v8, v8, v9
	v_mul_lo_u32 v9, s0, v4
	v_add_nc_u32_e32 v8, v8, v10
	v_mul_hi_u32 v10, v4, v9
	v_mul_lo_u32 v11, v4, v8
	v_mul_hi_u32 v12, v4, v8
	v_mul_hi_u32 v13, v7, v9
	v_mul_lo_u32 v9, v7, v9
	v_mul_hi_u32 v14, v7, v8
	v_mul_lo_u32 v8, v7, v8
	v_add_co_u32 v10, vcc_lo, v10, v11
	v_add_co_ci_u32_e32 v11, vcc_lo, 0, v12, vcc_lo
	v_add_co_u32 v9, vcc_lo, v10, v9
	v_add_co_ci_u32_e32 v9, vcc_lo, v11, v13, vcc_lo
	v_add_co_ci_u32_e32 v10, vcc_lo, 0, v14, vcc_lo
	v_add_co_u32 v8, vcc_lo, v9, v8
	v_add_co_ci_u32_e32 v9, vcc_lo, 0, v10, vcc_lo
	v_add_co_u32 v4, vcc_lo, v4, v8
	v_add_co_ci_u32_e32 v11, vcc_lo, v7, v9, vcc_lo
	v_mul_hi_u32 v13, v5, v4
	v_mad_u64_u32 v[9:10], null, v6, v4, 0
	v_mad_u64_u32 v[7:8], null, v5, v11, 0
	;; [unrolled: 1-line block ×3, first 2 shown]
	v_add_co_u32 v4, vcc_lo, v13, v7
	v_add_co_ci_u32_e32 v7, vcc_lo, 0, v8, vcc_lo
	v_add_co_u32 v4, vcc_lo, v4, v9
	v_add_co_ci_u32_e32 v4, vcc_lo, v7, v10, vcc_lo
	v_add_co_ci_u32_e32 v7, vcc_lo, 0, v12, vcc_lo
	v_add_co_u32 v4, vcc_lo, v4, v11
	v_add_co_ci_u32_e32 v9, vcc_lo, 0, v7, vcc_lo
	v_mul_lo_u32 v10, s21, v4
	v_mad_u64_u32 v[7:8], null, s20, v4, 0
	v_mul_lo_u32 v11, s20, v9
	v_sub_co_u32 v7, vcc_lo, v5, v7
	v_add3_u32 v8, v8, v11, v10
	v_sub_nc_u32_e32 v10, v6, v8
	v_subrev_co_ci_u32_e64 v10, s0, s21, v10, vcc_lo
	v_add_co_u32 v11, s0, v4, 2
	v_add_co_ci_u32_e64 v12, s0, 0, v9, s0
	v_sub_co_u32 v13, s0, v7, s20
	v_sub_co_ci_u32_e32 v8, vcc_lo, v6, v8, vcc_lo
	v_subrev_co_ci_u32_e64 v10, s0, 0, v10, s0
	v_cmp_le_u32_e32 vcc_lo, s20, v13
	v_cmp_eq_u32_e64 s0, s21, v8
	v_cndmask_b32_e64 v13, 0, -1, vcc_lo
	v_cmp_le_u32_e32 vcc_lo, s21, v10
	v_cndmask_b32_e64 v14, 0, -1, vcc_lo
	v_cmp_le_u32_e32 vcc_lo, s20, v7
	;; [unrolled: 2-line block ×3, first 2 shown]
	v_cndmask_b32_e64 v15, 0, -1, vcc_lo
	v_cmp_eq_u32_e32 vcc_lo, s21, v10
	v_cndmask_b32_e64 v7, v15, v7, s0
	v_cndmask_b32_e32 v10, v14, v13, vcc_lo
	v_add_co_u32 v13, vcc_lo, v4, 1
	v_add_co_ci_u32_e32 v14, vcc_lo, 0, v9, vcc_lo
	v_cmp_ne_u32_e32 vcc_lo, 0, v10
	v_cndmask_b32_e32 v8, v14, v12, vcc_lo
	v_cndmask_b32_e32 v10, v13, v11, vcc_lo
	v_cmp_ne_u32_e32 vcc_lo, 0, v7
	v_cndmask_b32_e32 v8, v9, v8, vcc_lo
	v_cndmask_b32_e32 v7, v4, v10, vcc_lo
.LBB0_4:                                ;   in Loop: Header=BB0_2 Depth=1
	s_andn2_saveexec_b32 s0, s1
	s_cbranch_execz .LBB0_6
; %bb.5:                                ;   in Loop: Header=BB0_2 Depth=1
	v_cvt_f32_u32_e32 v4, s20
	s_sub_i32 s1, 0, s20
	v_rcp_iflag_f32_e32 v4, v4
	v_mul_f32_e32 v4, 0x4f7ffffe, v4
	v_cvt_u32_f32_e32 v4, v4
	v_mul_lo_u32 v7, s1, v4
	v_mul_hi_u32 v7, v4, v7
	v_add_nc_u32_e32 v4, v4, v7
	v_mul_hi_u32 v4, v5, v4
	v_mul_lo_u32 v7, v4, s20
	v_add_nc_u32_e32 v8, 1, v4
	v_sub_nc_u32_e32 v7, v5, v7
	v_subrev_nc_u32_e32 v9, s20, v7
	v_cmp_le_u32_e32 vcc_lo, s20, v7
	v_cndmask_b32_e32 v7, v7, v9, vcc_lo
	v_cndmask_b32_e32 v4, v4, v8, vcc_lo
	v_cmp_le_u32_e32 vcc_lo, s20, v7
	v_add_nc_u32_e32 v8, 1, v4
	v_cndmask_b32_e32 v7, v4, v8, vcc_lo
	v_mov_b32_e32 v8, v3
.LBB0_6:                                ;   in Loop: Header=BB0_2 Depth=1
	s_or_b32 exec_lo, exec_lo, s0
	s_load_dwordx2 s[0:1], s[6:7], 0x0
	v_mul_lo_u32 v4, v8, s20
	v_mul_lo_u32 v11, v7, s21
	v_mad_u64_u32 v[9:10], null, v7, s20, 0
	s_add_u32 s18, s18, 1
	s_addc_u32 s19, s19, 0
	s_add_u32 s6, s6, 8
	s_addc_u32 s7, s7, 0
	;; [unrolled: 2-line block ×3, first 2 shown]
	v_add3_u32 v4, v10, v11, v4
	v_sub_co_u32 v5, vcc_lo, v5, v9
	v_sub_co_ci_u32_e32 v4, vcc_lo, v6, v4, vcc_lo
	s_waitcnt lgkmcnt(0)
	v_mul_lo_u32 v6, s1, v5
	v_mul_lo_u32 v4, s0, v4
	v_mad_u64_u32 v[1:2], null, s0, v5, v[1:2]
	v_cmp_ge_u64_e64 s0, s[18:19], s[10:11]
	s_and_b32 vcc_lo, exec_lo, s0
	v_add3_u32 v2, v6, v2, v4
	s_cbranch_vccnz .LBB0_9
; %bb.7:                                ;   in Loop: Header=BB0_2 Depth=1
	v_mov_b32_e32 v5, v7
	v_mov_b32_e32 v6, v8
	s_branch .LBB0_2
.LBB0_8:
	v_mov_b32_e32 v8, v6
	v_mov_b32_e32 v7, v5
.LBB0_9:
	s_lshl_b64 s[0:1], s[10:11], 3
	v_mul_hi_u32 v3, 0x124924a, v0
	s_add_u32 s0, s14, s0
	s_addc_u32 s1, s15, s1
	s_load_dwordx2 s[0:1], s[0:1], 0x0
	s_load_dwordx2 s[4:5], s[4:5], 0x20
	v_mul_u32_u24_e32 v3, 0xe0, v3
	v_sub_nc_u32_e32 v3, v0, v3
	v_add_nc_u32_e32 v5, 0xe0, v3
	s_waitcnt lgkmcnt(0)
	v_mul_lo_u32 v4, s0, v8
	v_mul_lo_u32 v6, s1, v7
	v_mad_u64_u32 v[1:2], null, s0, v7, v[1:2]
	v_cmp_gt_u64_e32 vcc_lo, s[4:5], v[7:8]
	v_cmp_le_u64_e64 s0, s[4:5], v[7:8]
                                        ; implicit-def: $sgpr4
	v_add3_u32 v2, v6, v2, v4
	v_add_nc_u32_e32 v4, 0x1c0, v3
	s_and_saveexec_b32 s1, s0
	s_xor_b32 s0, exec_lo, s1
; %bb.10:
	v_add_nc_u32_e32 v5, 0xe0, v3
	v_add_nc_u32_e32 v4, 0x1c0, v3
	s_mov_b32 s4, 0
; %bb.11:
	s_or_saveexec_b32 s1, s0
	v_lshlrev_b64 v[0:1], 2, v[1:2]
	v_mov_b32_e32 v2, s4
                                        ; implicit-def: $vgpr17
                                        ; implicit-def: $vgpr9
                                        ; implicit-def: $vgpr20
                                        ; implicit-def: $vgpr7
                                        ; implicit-def: $vgpr19
                                        ; implicit-def: $vgpr10
                                        ; implicit-def: $vgpr24
                                        ; implicit-def: $vgpr8
                                        ; implicit-def: $vgpr23
                                        ; implicit-def: $vgpr11
                                        ; implicit-def: $vgpr25
                                        ; implicit-def: $vgpr13
                                        ; implicit-def: $vgpr6
                                        ; implicit-def: $vgpr15
                                        ; implicit-def: $vgpr12
                                        ; implicit-def: $vgpr16
	s_xor_b32 exec_lo, exec_lo, s1
	s_cbranch_execz .LBB0_15
; %bb.12:
	v_mad_u64_u32 v[6:7], null, s12, v3, 0
	v_add_nc_u32_e32 v14, 0x310, v3
	v_mad_u64_u32 v[10:11], null, s12, v5, 0
	v_add_nc_u32_e32 v19, 0x3f0, v3
	v_mad_u64_u32 v[17:18], null, s12, v4, 0
	v_mad_u64_u32 v[8:9], null, s12, v14, 0
	v_mov_b32_e32 v2, v7
	v_mad_u64_u32 v[15:16], null, s12, v19, 0
	v_add_nc_u32_e32 v23, 0x4d0, v3
	s_mov_b32 s4, exec_lo
	v_mad_u64_u32 v[12:13], null, s13, v3, v[2:3]
	v_mov_b32_e32 v2, v9
	v_mov_b32_e32 v9, v11
	v_mad_u64_u32 v[13:14], null, s13, v14, v[2:3]
	v_mov_b32_e32 v7, v12
	v_mad_u64_u32 v[11:12], null, s13, v5, v[9:10]
	v_mov_b32_e32 v12, v16
	v_add_co_u32 v2, s0, s2, v0
	v_mov_b32_e32 v9, v13
	v_add_co_ci_u32_e64 v14, s0, s3, v1, s0
	v_mad_u64_u32 v[12:13], null, s13, v19, v[12:13]
	v_mad_u64_u32 v[19:20], null, s12, v23, 0
	v_lshlrev_b64 v[6:7], 2, v[6:7]
	v_mov_b32_e32 v13, v18
	v_lshlrev_b64 v[8:9], 2, v[8:9]
	v_mov_b32_e32 v16, v12
	v_mad_u64_u32 v[12:13], null, s13, v4, v[13:14]
	v_add_co_u32 v6, s0, v2, v6
	v_mov_b32_e32 v13, v20
	v_add_co_ci_u32_e64 v7, s0, v14, v7, s0
	v_add_co_u32 v21, s0, v2, v8
	v_add_co_ci_u32_e64 v22, s0, v14, v9, s0
	v_lshlrev_b64 v[8:9], 2, v[10:11]
	v_mad_u64_u32 v[10:11], null, s13, v23, v[13:14]
	v_mov_b32_e32 v18, v12
	v_lshlrev_b64 v[15:16], 2, v[15:16]
	v_add_co_u32 v11, s0, v2, v8
	v_add_co_ci_u32_e64 v12, s0, v14, v9, s0
	v_mov_b32_e32 v20, v10
	v_lshlrev_b64 v[8:9], 2, v[17:18]
	v_add_co_u32 v15, s0, v2, v15
	v_add_co_ci_u32_e64 v16, s0, v14, v16, s0
	v_lshlrev_b64 v[17:18], 2, v[19:20]
	v_add_co_u32 v19, s0, v2, v8
	v_add_co_ci_u32_e64 v20, s0, v14, v9, s0
	v_add_co_u32 v17, s0, v2, v17
	v_add_co_ci_u32_e64 v18, s0, v14, v18, s0
	s_clause 0x5
	global_load_dword v9, v[6:7], off
	global_load_dword v7, v[21:22], off
	;; [unrolled: 1-line block ×6, first 2 shown]
                                        ; implicit-def: $vgpr16
                                        ; implicit-def: $vgpr12
                                        ; implicit-def: $vgpr15
                                        ; implicit-def: $vgpr6
	v_cmpx_gt_u32_e32 0x70, v3
	s_cbranch_execz .LBB0_14
; %bb.13:
	v_add_nc_u32_e32 v19, 0x2a0, v3
	v_add_nc_u32_e32 v20, 0x5b0, v3
	v_mad_u64_u32 v[15:16], null, s12, v19, 0
	v_mad_u64_u32 v[17:18], null, s12, v20, 0
	v_mov_b32_e32 v6, v16
	v_mov_b32_e32 v12, v18
	s_waitcnt vmcnt(4)
	v_mad_u64_u32 v[18:19], null, s13, v19, v[6:7]
	s_waitcnt vmcnt(0)
	v_mad_u64_u32 v[19:20], null, s13, v20, v[12:13]
	v_mov_b32_e32 v16, v18
	v_mov_b32_e32 v18, v19
	v_lshlrev_b64 v[15:16], 2, v[15:16]
	v_lshlrev_b64 v[17:18], 2, v[17:18]
	v_add_co_u32 v15, s0, v2, v15
	v_add_co_ci_u32_e64 v16, s0, v14, v16, s0
	v_add_co_u32 v17, s0, v2, v17
	v_add_co_ci_u32_e64 v18, s0, v14, v18, s0
	s_clause 0x1
	global_load_dword v15, v[15:16], off
	global_load_dword v16, v[17:18], off
	s_waitcnt vmcnt(1)
	v_lshrrev_b32_e32 v6, 16, v15
	s_waitcnt vmcnt(0)
	v_lshrrev_b32_e32 v12, 16, v16
.LBB0_14:
	s_or_b32 exec_lo, exec_lo, s4
	s_waitcnt vmcnt(5)
	v_lshrrev_b32_e32 v17, 16, v9
	s_waitcnt vmcnt(4)
	v_lshrrev_b32_e32 v20, 16, v7
	;; [unrolled: 2-line block ×6, first 2 shown]
	v_mov_b32_e32 v2, v3
.LBB0_15:
	s_or_b32 exec_lo, exec_lo, s1
	v_sub_f16_e32 v14, v9, v7
	v_sub_f16_e32 v18, v10, v8
	;; [unrolled: 1-line block ×4, first 2 shown]
	v_lshlrev_b32_e32 v8, 1, v3
	v_fma_f16 v9, v9, 2.0, -v14
	v_fma_f16 v10, v10, 2.0, -v18
	;; [unrolled: 1-line block ×3, first 2 shown]
	v_add_nc_u32_e32 v11, 0x2a0, v3
	v_lshl_add_u32 v27, v3, 2, 0
	v_fma_f16 v16, v15, 2.0, -v7
	v_pack_b32_f16 v14, v9, v14
	v_lshlrev_b32_e32 v9, 1, v5
	v_lshl_add_u32 v5, v5, 2, 0
	v_pack_b32_f16 v15, v10, v18
	v_lshlrev_b32_e32 v10, 1, v4
	v_lshl_add_u32 v26, v4, 2, 0
	v_cmp_gt_u32_e64 s0, 0x70, v3
	v_lshl_add_u32 v28, v11, 2, 0
	v_pack_b32_f16 v4, v21, v13
	ds_write_b32 v27, v14
	ds_write_b32 v5, v15
	;; [unrolled: 1-line block ×3, first 2 shown]
	s_and_saveexec_b32 s1, s0
	s_cbranch_execz .LBB0_17
; %bb.16:
	v_perm_b32 v4, v7, v16, 0x5040100
	ds_write_b32 v28, v4
.LBB0_17:
	s_or_b32 exec_lo, exec_lo, s1
	v_sub_nc_u32_e32 v4, v27, v8
	v_sub_nc_u32_e32 v15, v26, v10
	v_sub_nc_u32_e32 v22, v5, v9
	s_waitcnt lgkmcnt(0)
	s_barrier
	buffer_gl0_inv
	ds_read_u16 v18, v4
	ds_read_u16 v14, v4 offset:1568
	ds_read_u16 v13, v4 offset:2016
	ds_read_u16 v21, v15
	ds_read_u16 v22, v22
	ds_read_u16 v15, v4 offset:2464
	v_sub_nc_u32_e32 v4, 0, v8
	v_add_nc_u32_e32 v4, v27, v4
	s_and_saveexec_b32 s1, s0
	s_cbranch_execz .LBB0_19
; %bb.18:
	ds_read_u16 v16, v4 offset:1344
	ds_read_u16 v7, v4 offset:2912
.LBB0_19:
	s_or_b32 exec_lo, exec_lo, s1
	v_sub_f16_e32 v30, v17, v20
	v_sub_f16_e32 v24, v19, v24
	;; [unrolled: 1-line block ×4, first 2 shown]
	v_sub_nc_u32_e32 v29, 0, v9
	v_fma_f16 v17, v17, 2.0, -v30
	v_fma_f16 v31, v19, 2.0, -v24
	v_fma_f16 v23, v23, 2.0, -v25
	v_sub_nc_u32_e32 v12, 0, v10
	v_fma_f16 v19, v6, 2.0, -v20
	v_pack_b32_f16 v6, v17, v30
	v_pack_b32_f16 v17, v31, v24
	;; [unrolled: 1-line block ×3, first 2 shown]
	s_waitcnt lgkmcnt(0)
	s_barrier
	buffer_gl0_inv
	ds_write_b32 v27, v6
	ds_write_b32 v5, v17
	;; [unrolled: 1-line block ×3, first 2 shown]
	s_and_saveexec_b32 s1, s0
	s_cbranch_execz .LBB0_21
; %bb.20:
	v_perm_b32 v6, v20, v19, 0x5040100
	ds_write_b32 v28, v6
.LBB0_21:
	s_or_b32 exec_lo, exec_lo, s1
	v_add_nc_u32_e32 v5, v5, v29
	s_waitcnt lgkmcnt(0)
	s_barrier
	buffer_gl0_inv
	v_add_nc_u32_e32 v6, v26, v12
	ds_read_u16 v23, v5
	ds_read_u16 v29, v4 offset:1568
	ds_read_u16 v30, v4 offset:2016
	;; [unrolled: 1-line block ×3, first 2 shown]
	ds_read_u16 v25, v4
	ds_read_u16 v24, v6
	s_and_saveexec_b32 s1, s0
	s_cbranch_execz .LBB0_23
; %bb.22:
	ds_read_u16 v19, v4 offset:1344
	ds_read_u16 v20, v4 offset:2912
.LBB0_23:
	s_or_b32 exec_lo, exec_lo, s1
	v_and_b32_e32 v27, 1, v3
	v_lshlrev_b32_e32 v11, 1, v11
	v_lshlrev_b32_e32 v12, 2, v27
	v_and_or_b32 v17, 0x3fc, v9, v27
	v_and_or_b32 v26, 0x7fc, v10, v27
	global_load_dword v33, v12, s[8:9]
	v_and_or_b32 v12, 0x1fc, v8, v27
	v_lshl_add_u32 v35, v17, 1, 0
	s_waitcnt vmcnt(0) lgkmcnt(0)
	s_barrier
	buffer_gl0_inv
	v_lshl_add_u32 v34, v12, 1, 0
	v_mul_f16_sdwa v28, v29, v33 dst_sel:DWORD dst_unused:UNUSED_PAD src0_sel:DWORD src1_sel:WORD_1
	v_mul_f16_sdwa v31, v30, v33 dst_sel:DWORD dst_unused:UNUSED_PAD src0_sel:DWORD src1_sel:WORD_1
	;; [unrolled: 1-line block ×4, first 2 shown]
	v_fmac_f16_e32 v28, v14, v33
	v_fmac_f16_e32 v31, v13, v33
	;; [unrolled: 1-line block ×4, first 2 shown]
	v_sub_f16_e32 v17, v18, v28
	v_sub_f16_e32 v28, v22, v31
	;; [unrolled: 1-line block ×4, first 2 shown]
	v_lshl_add_u32 v36, v26, 1, 0
	v_fma_f16 v18, v18, 2.0, -v17
	v_fma_f16 v22, v22, 2.0, -v28
	;; [unrolled: 1-line block ×4, first 2 shown]
	ds_write_b16 v34, v17 offset:4
	ds_write_b16 v34, v18
	ds_write_b16 v35, v22
	ds_write_b16 v35, v28 offset:4
	ds_write_b16 v36, v26
	ds_write_b16 v36, v31 offset:4
	s_and_saveexec_b32 s1, s0
	s_cbranch_execz .LBB0_25
; %bb.24:
	v_and_or_b32 v16, 0x7fc, v11, v27
	v_lshl_add_u32 v16, v16, 1, 0
	ds_write_b16 v16, v21
	ds_write_b16 v16, v12 offset:4
.LBB0_25:
	s_or_b32 exec_lo, exec_lo, s1
	s_waitcnt lgkmcnt(0)
	s_barrier
	buffer_gl0_inv
	ds_read_u16 v26, v5
	ds_read_u16 v18, v4 offset:1568
	ds_read_u16 v16, v4 offset:2016
	;; [unrolled: 1-line block ×3, first 2 shown]
	ds_read_u16 v31, v4
	ds_read_u16 v28, v6
	s_and_saveexec_b32 s1, s0
	s_cbranch_execz .LBB0_27
; %bb.26:
	ds_read_u16 v21, v4 offset:1344
	ds_read_u16 v12, v4 offset:2912
.LBB0_27:
	s_or_b32 exec_lo, exec_lo, s1
	v_mul_f16_sdwa v7, v7, v33 dst_sel:DWORD dst_unused:UNUSED_PAD src0_sel:DWORD src1_sel:WORD_1
	v_mul_f16_sdwa v14, v14, v33 dst_sel:DWORD dst_unused:UNUSED_PAD src0_sel:DWORD src1_sel:WORD_1
	;; [unrolled: 1-line block ×4, first 2 shown]
	s_waitcnt lgkmcnt(0)
	v_fma_f16 v7, v20, v33, -v7
	v_fma_f16 v14, v29, v33, -v14
	;; [unrolled: 1-line block ×4, first 2 shown]
	s_barrier
	v_sub_f16_e32 v22, v19, v7
	v_sub_f16_e32 v14, v25, v14
	;; [unrolled: 1-line block ×4, first 2 shown]
	buffer_gl0_inv
	v_fma_f16 v20, v19, 2.0, -v22
	v_fma_f16 v7, v25, 2.0, -v14
	;; [unrolled: 1-line block ×4, first 2 shown]
	ds_write_b16 v34, v14 offset:4
	ds_write_b16 v34, v7
	ds_write_b16 v35, v23
	ds_write_b16 v35, v13 offset:4
	ds_write_b16 v36, v24
	ds_write_b16 v36, v15 offset:4
	s_and_saveexec_b32 s1, s0
	s_cbranch_execz .LBB0_29
; %bb.28:
	v_and_or_b32 v7, 0x7fc, v11, v27
	v_lshl_add_u32 v7, v7, 1, 0
	ds_write_b16 v7, v20
	ds_write_b16 v7, v22 offset:4
.LBB0_29:
	s_or_b32 exec_lo, exec_lo, s1
	s_waitcnt lgkmcnt(0)
	s_barrier
	buffer_gl0_inv
	ds_read_u16 v24, v5
	ds_read_u16 v32, v4 offset:1568
	ds_read_u16 v33, v4 offset:2016
	;; [unrolled: 1-line block ×3, first 2 shown]
	ds_read_u16 v29, v4
	ds_read_u16 v27, v6
	s_and_saveexec_b32 s1, s0
	s_cbranch_execz .LBB0_31
; %bb.30:
	ds_read_u16 v20, v4 offset:1344
	ds_read_u16 v22, v4 offset:2912
.LBB0_31:
	s_or_b32 exec_lo, exec_lo, s1
	v_and_b32_e32 v30, 3, v3
	v_lshlrev_b32_e32 v7, 2, v30
	v_and_or_b32 v13, 0x3f8, v9, v30
	v_and_or_b32 v14, 0x7f8, v10, v30
	global_load_dword v35, v7, s[8:9] offset:8
	v_and_or_b32 v7, 0x1f8, v8, v30
	v_lshl_add_u32 v37, v13, 1, 0
	v_lshl_add_u32 v38, v14, 1, 0
	s_waitcnt vmcnt(0) lgkmcnt(0)
	s_barrier
	v_lshl_add_u32 v36, v7, 1, 0
	buffer_gl0_inv
	v_mul_f16_sdwa v25, v22, v35 dst_sel:DWORD dst_unused:UNUSED_PAD src0_sel:DWORD src1_sel:WORD_1
	v_mul_f16_sdwa v15, v32, v35 dst_sel:DWORD dst_unused:UNUSED_PAD src0_sel:DWORD src1_sel:WORD_1
	;; [unrolled: 1-line block ×4, first 2 shown]
	v_fmac_f16_e32 v25, v12, v35
	v_fmac_f16_e32 v15, v18, v35
	;; [unrolled: 1-line block ×4, first 2 shown]
	v_sub_f16_e32 v13, v21, v25
	v_sub_f16_e32 v7, v31, v15
	;; [unrolled: 1-line block ×4, first 2 shown]
	v_fma_f16 v21, v21, 2.0, -v13
	v_fma_f16 v14, v31, 2.0, -v7
	;; [unrolled: 1-line block ×4, first 2 shown]
	ds_write_b16 v36, v7 offset:8
	ds_write_b16 v36, v14
	ds_write_b16 v37, v23
	ds_write_b16 v37, v15 offset:8
	ds_write_b16 v38, v25
	ds_write_b16 v38, v19 offset:8
	s_and_saveexec_b32 s1, s0
	s_cbranch_execz .LBB0_33
; %bb.32:
	v_and_or_b32 v7, 0x7f8, v11, v30
	v_lshl_add_u32 v7, v7, 1, 0
	ds_write_b16 v7, v21
	ds_write_b16 v7, v13 offset:8
.LBB0_33:
	s_or_b32 exec_lo, exec_lo, s1
	s_waitcnt lgkmcnt(0)
	s_barrier
	buffer_gl0_inv
	ds_read_u16 v23, v5
	ds_read_u16 v19, v4 offset:1568
	ds_read_u16 v14, v4 offset:2016
	;; [unrolled: 1-line block ×3, first 2 shown]
	ds_read_u16 v26, v4
	ds_read_u16 v25, v6
	v_lshl_add_u32 v7, v3, 1, 0
	s_and_saveexec_b32 s1, s0
	s_cbranch_execz .LBB0_35
; %bb.34:
	ds_read_u16 v21, v7 offset:1344
	ds_read_u16 v13, v4 offset:2912
.LBB0_35:
	s_or_b32 exec_lo, exec_lo, s1
	v_mul_f16_sdwa v12, v12, v35 dst_sel:DWORD dst_unused:UNUSED_PAD src0_sel:DWORD src1_sel:WORD_1
	v_mul_f16_sdwa v18, v18, v35 dst_sel:DWORD dst_unused:UNUSED_PAD src0_sel:DWORD src1_sel:WORD_1
	;; [unrolled: 1-line block ×4, first 2 shown]
	s_waitcnt lgkmcnt(0)
	v_fma_f16 v12, v22, v35, -v12
	v_fma_f16 v18, v32, v35, -v18
	;; [unrolled: 1-line block ×4, first 2 shown]
	s_barrier
	v_sub_f16_e32 v22, v20, v12
	v_sub_f16_e32 v18, v29, v18
	v_sub_f16_e32 v16, v24, v16
	v_sub_f16_e32 v28, v27, v17
	buffer_gl0_inv
	v_fma_f16 v17, v20, 2.0, -v22
	v_fma_f16 v12, v29, 2.0, -v18
	;; [unrolled: 1-line block ×4, first 2 shown]
	ds_write_b16 v36, v18 offset:8
	ds_write_b16 v36, v12
	ds_write_b16 v37, v24
	ds_write_b16 v37, v16 offset:8
	ds_write_b16 v38, v27
	ds_write_b16 v38, v28 offset:8
	s_and_saveexec_b32 s1, s0
	s_cbranch_execz .LBB0_37
; %bb.36:
	v_and_or_b32 v12, 0x7f8, v11, v30
	v_lshl_add_u32 v12, v12, 1, 0
	ds_write_b16 v12, v17
	ds_write_b16 v12, v22 offset:8
.LBB0_37:
	s_or_b32 exec_lo, exec_lo, s1
	s_waitcnt lgkmcnt(0)
	s_barrier
	buffer_gl0_inv
	ds_read_u16 v24, v5
	ds_read_u16 v30, v4 offset:1568
	ds_read_u16 v31, v4 offset:2016
	;; [unrolled: 1-line block ×3, first 2 shown]
	ds_read_u16 v28, v4
	ds_read_u16 v27, v6
	s_and_saveexec_b32 s1, s0
	s_cbranch_execz .LBB0_39
; %bb.38:
	ds_read_u16 v17, v7 offset:1344
	ds_read_u16 v22, v4 offset:2912
.LBB0_39:
	s_or_b32 exec_lo, exec_lo, s1
	v_and_b32_e32 v29, 7, v3
	v_lshlrev_b32_e32 v12, 2, v29
	v_and_or_b32 v16, 0x3f0, v9, v29
	v_and_or_b32 v18, 0x7f0, v10, v29
	global_load_dword v33, v12, s[8:9] offset:24
	v_and_or_b32 v12, 0x1f0, v8, v29
	v_lshl_add_u32 v35, v16, 1, 0
	s_waitcnt vmcnt(0) lgkmcnt(0)
	s_barrier
	buffer_gl0_inv
	v_lshl_add_u32 v34, v12, 1, 0
	v_mul_f16_sdwa v38, v22, v33 dst_sel:DWORD dst_unused:UNUSED_PAD src0_sel:DWORD src1_sel:WORD_1
	v_mul_f16_sdwa v20, v30, v33 dst_sel:DWORD dst_unused:UNUSED_PAD src0_sel:DWORD src1_sel:WORD_1
	;; [unrolled: 1-line block ×4, first 2 shown]
	v_fmac_f16_e32 v38, v13, v33
	v_fmac_f16_e32 v20, v19, v33
	v_fmac_f16_e32 v36, v14, v33
	v_fmac_f16_e32 v37, v15, v33
	v_sub_f16_e32 v12, v21, v38
	v_sub_f16_e32 v20, v26, v20
	;; [unrolled: 1-line block ×4, first 2 shown]
	v_lshl_add_u32 v36, v18, 1, 0
	v_fma_f16 v16, v21, 2.0, -v12
	v_fma_f16 v18, v26, 2.0, -v20
	;; [unrolled: 1-line block ×4, first 2 shown]
	ds_write_b16 v34, v20 offset:16
	ds_write_b16 v34, v18
	ds_write_b16 v35, v23
	ds_write_b16 v35, v39 offset:16
	ds_write_b16 v36, v25
	ds_write_b16 v36, v37 offset:16
	s_and_saveexec_b32 s1, s0
	s_cbranch_execz .LBB0_41
; %bb.40:
	v_and_or_b32 v18, 0x7f0, v11, v29
	v_lshl_add_u32 v18, v18, 1, 0
	ds_write_b16 v18, v16
	ds_write_b16 v18, v12 offset:16
.LBB0_41:
	s_or_b32 exec_lo, exec_lo, s1
	s_waitcnt lgkmcnt(0)
	s_barrier
	buffer_gl0_inv
	ds_read_u16 v23, v5
	ds_read_u16 v21, v4 offset:1568
	ds_read_u16 v18, v4 offset:2016
	;; [unrolled: 1-line block ×3, first 2 shown]
	ds_read_u16 v26, v4
	ds_read_u16 v25, v6
	s_and_saveexec_b32 s1, s0
	s_cbranch_execz .LBB0_43
; %bb.42:
	ds_read_u16 v16, v7 offset:1344
	ds_read_u16 v12, v4 offset:2912
.LBB0_43:
	s_or_b32 exec_lo, exec_lo, s1
	v_mul_f16_sdwa v19, v19, v33 dst_sel:DWORD dst_unused:UNUSED_PAD src0_sel:DWORD src1_sel:WORD_1
	v_mul_f16_sdwa v13, v13, v33 dst_sel:DWORD dst_unused:UNUSED_PAD src0_sel:DWORD src1_sel:WORD_1
	;; [unrolled: 1-line block ×4, first 2 shown]
	s_waitcnt lgkmcnt(0)
	v_fma_f16 v19, v30, v33, -v19
	v_fma_f16 v13, v22, v33, -v13
	v_fma_f16 v14, v31, v33, -v14
	v_fma_f16 v15, v32, v33, -v15
	s_barrier
	v_sub_f16_e32 v22, v28, v19
	v_sub_f16_e32 v19, v17, v13
	;; [unrolled: 1-line block ×4, first 2 shown]
	buffer_gl0_inv
	v_fma_f16 v13, v28, 2.0, -v22
	v_fma_f16 v17, v17, 2.0, -v19
	;; [unrolled: 1-line block ×4, first 2 shown]
	ds_write_b16 v34, v22 offset:16
	ds_write_b16 v34, v13
	ds_write_b16 v35, v24
	ds_write_b16 v35, v14 offset:16
	ds_write_b16 v36, v27
	ds_write_b16 v36, v15 offset:16
	s_and_saveexec_b32 s1, s0
	s_cbranch_execz .LBB0_45
; %bb.44:
	v_and_or_b32 v13, 0x7f0, v11, v29
	v_lshl_add_u32 v13, v13, 1, 0
	ds_write_b16 v13, v17
	ds_write_b16 v13, v19 offset:16
.LBB0_45:
	s_or_b32 exec_lo, exec_lo, s1
	s_waitcnt lgkmcnt(0)
	s_barrier
	buffer_gl0_inv
	ds_read_u16 v22, v5
	ds_read_u16 v13, v4 offset:1568
	ds_read_u16 v14, v4 offset:2016
	;; [unrolled: 1-line block ×3, first 2 shown]
	ds_read_u16 v28, v4
	ds_read_u16 v27, v6
	s_and_saveexec_b32 s1, s0
	s_cbranch_execz .LBB0_47
; %bb.46:
	ds_read_u16 v17, v7 offset:1344
	ds_read_u16 v19, v4 offset:2912
.LBB0_47:
	s_or_b32 exec_lo, exec_lo, s1
	v_and_b32_e32 v24, 15, v3
	v_lshlrev_b32_e32 v29, 2, v24
	v_and_or_b32 v8, 0x1e0, v8, v24
	v_and_or_b32 v9, 0x3e0, v9, v24
	v_and_or_b32 v10, 0x7e0, v10, v24
	global_load_dword v29, v29, s[8:9] offset:56
	s_waitcnt vmcnt(0) lgkmcnt(0)
	s_barrier
	buffer_gl0_inv
	v_mul_f16_sdwa v30, v13, v29 dst_sel:DWORD dst_unused:UNUSED_PAD src0_sel:DWORD src1_sel:WORD_1
	v_mul_f16_sdwa v31, v14, v29 dst_sel:DWORD dst_unused:UNUSED_PAD src0_sel:DWORD src1_sel:WORD_1
	;; [unrolled: 1-line block ×3, first 2 shown]
	v_fmac_f16_e32 v30, v21, v29
	v_fmac_f16_e32 v31, v18, v29
	;; [unrolled: 1-line block ×3, first 2 shown]
	v_sub_f16_e32 v33, v26, v30
	v_sub_f16_e32 v34, v23, v31
	v_lshl_add_u32 v30, v8, 1, 0
	v_sub_f16_e32 v8, v25, v32
	v_lshl_add_u32 v31, v9, 1, 0
	v_fma_f16 v9, v26, 2.0, -v33
	v_fma_f16 v26, v23, 2.0, -v34
	v_lshl_add_u32 v23, v10, 1, 0
	v_fma_f16 v10, v25, 2.0, -v8
	ds_write_b16 v30, v33 offset:32
	ds_write_b16 v30, v9
	ds_write_b16 v31, v26
	ds_write_b16 v31, v34 offset:32
	ds_write_b16 v23, v10
	ds_write_b16 v23, v8 offset:32
	s_and_saveexec_b32 s1, s0
	s_cbranch_execz .LBB0_49
; %bb.48:
	v_mul_f16_sdwa v8, v19, v29 dst_sel:DWORD dst_unused:UNUSED_PAD src0_sel:DWORD src1_sel:WORD_1
	v_and_or_b32 v9, 0x7e0, v11, v24
	v_fmac_f16_e32 v8, v12, v29
	v_lshl_add_u32 v9, v9, 1, 0
	v_sub_f16_e32 v8, v16, v8
	v_fma_f16 v10, v16, 2.0, -v8
	ds_write_b16 v9, v10
	ds_write_b16 v9, v8 offset:32
.LBB0_49:
	s_or_b32 exec_lo, exec_lo, s1
	v_mul_f16_sdwa v8, v21, v29 dst_sel:DWORD dst_unused:UNUSED_PAD src0_sel:DWORD src1_sel:WORD_1
	v_mul_f16_sdwa v9, v18, v29 dst_sel:DWORD dst_unused:UNUSED_PAD src0_sel:DWORD src1_sel:WORD_1
	;; [unrolled: 1-line block ×3, first 2 shown]
	s_waitcnt lgkmcnt(0)
	s_barrier
	v_fma_f16 v18, v13, v29, -v8
	v_fma_f16 v20, v14, v29, -v9
	;; [unrolled: 1-line block ×3, first 2 shown]
	buffer_gl0_inv
	ds_read_u16 v14, v5
	ds_read_u16 v10, v4 offset:1792
	ds_read_u16 v9, v4 offset:2240
	;; [unrolled: 1-line block ×4, first 2 shown]
	ds_read_u16 v8, v4
	ds_read_u16 v16, v6
	v_sub_f16_e32 v18, v28, v18
	v_sub_f16_e32 v20, v22, v20
	;; [unrolled: 1-line block ×3, first 2 shown]
	s_waitcnt lgkmcnt(0)
	s_barrier
	v_fma_f16 v25, v28, 2.0, -v18
	v_fma_f16 v22, v22, 2.0, -v20
	;; [unrolled: 1-line block ×3, first 2 shown]
	buffer_gl0_inv
	ds_write_b16 v30, v25
	ds_write_b16 v30, v18 offset:32
	ds_write_b16 v31, v22
	ds_write_b16 v31, v20 offset:32
	;; [unrolled: 2-line block ×3, first 2 shown]
	s_and_saveexec_b32 s1, s0
	s_cbranch_execz .LBB0_51
; %bb.50:
	v_mul_f16_sdwa v12, v12, v29 dst_sel:DWORD dst_unused:UNUSED_PAD src0_sel:DWORD src1_sel:WORD_1
	v_and_or_b32 v11, 0x7e0, v11, v24
	v_fma_f16 v12, v19, v29, -v12
	v_lshl_add_u32 v11, v11, 1, 0
	v_sub_f16_e32 v12, v17, v12
	v_fma_f16 v17, v17, 2.0, -v12
	ds_write_b16 v11, v17
	ds_write_b16 v11, v12 offset:32
.LBB0_51:
	s_or_b32 exec_lo, exec_lo, s1
	v_and_b32_e32 v21, 31, v3
	s_waitcnt lgkmcnt(0)
	s_barrier
	buffer_gl0_inv
	v_lshrrev_b32_e32 v25, 5, v3
	v_mul_u32_u24_e32 v11, 6, v21
	v_mul_u32_u24_e32 v25, 0xe0, v25
	v_lshlrev_b32_e32 v11, 2, v11
	s_clause 0x1
	global_load_dwordx4 v[17:20], v11, s[8:9] offset:120
	global_load_dwordx2 v[11:12], v11, s[8:9] offset:136
	ds_read_u16 v22, v5
	ds_read_u16 v23, v6
	ds_read_u16 v24, v7 offset:1344
	ds_read_u16 v26, v4 offset:1792
	;; [unrolled: 1-line block ×4, first 2 shown]
	v_or_b32_e32 v21, v25, v21
	ds_read_u16 v25, v4
	s_waitcnt vmcnt(0) lgkmcnt(0)
	s_barrier
	buffer_gl0_inv
	v_lshl_add_u32 v21, v21, 1, 0
	v_mul_f16_sdwa v29, v22, v17 dst_sel:DWORD dst_unused:UNUSED_PAD src0_sel:DWORD src1_sel:WORD_1
	v_mul_f16_sdwa v30, v14, v17 dst_sel:DWORD dst_unused:UNUSED_PAD src0_sel:DWORD src1_sel:WORD_1
	;; [unrolled: 1-line block ×12, first 2 shown]
	v_fmac_f16_e32 v29, v14, v17
	v_fma_f16 v14, v22, v17, -v30
	v_fmac_f16_e32 v31, v16, v18
	v_fmac_f16_e32 v35, v10, v20
	;; [unrolled: 1-line block ×3, first 2 shown]
	v_fma_f16 v10, v28, v12, -v40
	v_fmac_f16_e32 v37, v9, v11
	v_fma_f16 v16, v23, v18, -v32
	v_fmac_f16_e32 v33, v15, v19
	v_fma_f16 v15, v24, v19, -v34
	v_fma_f16 v12, v26, v20, -v36
	;; [unrolled: 1-line block ×3, first 2 shown]
	v_add_f16_e32 v11, v29, v39
	v_add_f16_e32 v13, v14, v10
	v_sub_f16_e32 v10, v14, v10
	v_add_f16_e32 v14, v31, v37
	v_add_f16_e32 v18, v16, v9
	v_sub_f16_e32 v9, v16, v9
	;; [unrolled: 3-line block ×3, first 2 shown]
	v_add_f16_e32 v15, v14, v11
	v_sub_f16_e32 v17, v29, v39
	v_sub_f16_e32 v19, v31, v37
	;; [unrolled: 1-line block ×3, first 2 shown]
	v_add_f16_e32 v23, v18, v13
	v_sub_f16_e32 v24, v14, v11
	v_sub_f16_e32 v26, v18, v13
	;; [unrolled: 1-line block ×5, first 2 shown]
	v_add_f16_e32 v28, v12, v9
	v_sub_f16_e32 v30, v12, v9
	v_add_f16_e32 v15, v16, v15
	v_sub_f16_e32 v9, v9, v10
	v_sub_f16_e32 v14, v16, v14
	v_add_f16_e32 v27, v22, v19
	v_sub_f16_e32 v29, v22, v19
	v_sub_f16_e32 v12, v10, v12
	;; [unrolled: 1-line block ×3, first 2 shown]
	v_add_f16_e32 v16, v20, v23
	v_add_f16_e32 v10, v28, v10
	v_mul_f16_e32 v11, 0x3a52, v11
	v_mul_f16_e32 v13, 0x3a52, v13
	;; [unrolled: 1-line block ×4, first 2 shown]
	v_add_f16_e32 v8, v8, v15
	v_mul_f16_e32 v30, 0xbb00, v9
	v_mul_f16_e32 v20, 0x2b26, v14
	v_sub_f16_e32 v22, v17, v22
	v_add_f16_e32 v17, v27, v17
	v_mul_f16_e32 v27, 0x3846, v29
	v_mul_f16_e32 v29, 0xbb00, v19
	v_add_f16_e32 v25, v25, v16
	v_fmamk_f16 v14, v14, 0x2b26, v11
	v_fmamk_f16 v18, v18, 0x2b26, v13
	v_fma_f16 v23, v26, 0x39e0, -v23
	v_fma_f16 v13, v26, 0xb9e0, -v13
	v_fmamk_f16 v26, v12, 0xb574, v28
	v_fmamk_f16 v15, v15, 0xbcab, v8
	v_fma_f16 v11, v24, 0xb9e0, -v11
	v_fma_f16 v9, v9, 0xbb00, -v28
	;; [unrolled: 1-line block ×4, first 2 shown]
	v_fmamk_f16 v24, v22, 0xb574, v27
	v_fma_f16 v19, v19, 0xbb00, -v27
	v_fma_f16 v22, v22, 0x3574, -v29
	v_fmamk_f16 v16, v16, 0xbcab, v25
	v_fmac_f16_e32 v26, 0xb70e, v10
	ds_write_b16 v21, v8
	v_add_f16_e32 v8, v14, v15
	v_fmac_f16_e32 v9, 0xb70e, v10
	v_fmac_f16_e32 v12, 0xb70e, v10
	v_add_f16_e32 v10, v11, v15
	v_add_f16_e32 v11, v20, v15
	v_fmac_f16_e32 v24, 0xb70e, v17
	v_fmac_f16_e32 v19, 0xb70e, v17
	;; [unrolled: 1-line block ×3, first 2 shown]
	v_add_f16_e32 v17, v18, v16
	v_add_f16_e32 v15, v23, v16
	;; [unrolled: 1-line block ×5, first 2 shown]
	v_sub_f16_e32 v18, v11, v9
	v_add_f16_e32 v9, v9, v11
	v_sub_f16_e32 v10, v10, v12
	v_sub_f16_e32 v8, v8, v26
	ds_write_b16 v21, v13 offset:64
	ds_write_b16 v21, v14 offset:128
	;; [unrolled: 1-line block ×6, first 2 shown]
	s_waitcnt lgkmcnt(0)
	s_barrier
	buffer_gl0_inv
	ds_read_u16 v9, v5
	ds_read_u16 v10, v4 offset:1792
	ds_read_u16 v11, v4 offset:2240
	;; [unrolled: 1-line block ×4, first 2 shown]
	ds_read_u16 v8, v4
	ds_read_u16 v12, v6
	v_sub_f16_e32 v18, v17, v24
	v_sub_f16_e32 v20, v16, v22
	v_add_f16_e32 v23, v19, v15
	v_sub_f16_e32 v15, v15, v19
	v_add_f16_e32 v16, v22, v16
	v_add_f16_e32 v17, v24, v17
	s_waitcnt lgkmcnt(0)
	s_barrier
	buffer_gl0_inv
	ds_write_b16 v21, v25
	ds_write_b16 v21, v18 offset:64
	ds_write_b16 v21, v20 offset:128
	;; [unrolled: 1-line block ×6, first 2 shown]
	s_waitcnt lgkmcnt(0)
	s_barrier
	buffer_gl0_inv
	s_and_saveexec_b32 s0, vcc_lo
	s_cbranch_execz .LBB0_53
; %bb.52:
	v_mul_u32_u24_e32 v3, 6, v3
	v_add_nc_u32_e32 v33, 0xe0, v2
	v_add_nc_u32_e32 v34, 0x1c0, v2
	;; [unrolled: 1-line block ×4, first 2 shown]
	v_lshlrev_b32_e32 v3, 2, v3
	v_add_nc_u32_e32 v37, 0x460, v2
	v_mad_u64_u32 v[21:22], null, s12, v34, 0
	v_add_nc_u32_e32 v38, 0x540, v2
	s_clause 0x1
	global_load_dwordx4 v[15:18], v3, s[8:9] offset:888
	global_load_dwordx2 v[19:20], v3, s[8:9] offset:904
	ds_read_u16 v39, v7 offset:1344
	ds_read_u16 v40, v5
	ds_read_u16 v41, v6
	ds_read_u16 v42, v4 offset:2688
	ds_read_u16 v43, v4 offset:2240
	;; [unrolled: 1-line block ×3, first 2 shown]
	ds_read_u16 v45, v4
	v_mad_u64_u32 v[3:4], null, s12, v2, 0
	v_mad_u64_u32 v[5:6], null, s12, v33, 0
	;; [unrolled: 1-line block ×6, first 2 shown]
	v_mov_b32_e32 v2, v6
	v_mad_u64_u32 v[29:30], null, s12, v38, 0
	v_mov_b32_e32 v4, v22
	v_mov_b32_e32 v6, v24
	v_mad_u64_u32 v[32:33], null, s13, v33, v[2:3]
	v_mov_b32_e32 v7, v26
	;; [unrolled: 3-line block ×3, first 2 shown]
	v_mov_b32_e32 v4, v31
	v_mad_u64_u32 v[34:35], null, s13, v35, v[6:7]
	v_mad_u64_u32 v[35:36], null, s13, v36, v[7:8]
	;; [unrolled: 1-line block ×3, first 2 shown]
	v_add_co_u32 v31, vcc_lo, s2, v0
	v_mov_b32_e32 v6, v32
	v_mad_u64_u32 v[37:38], null, s13, v38, v[24:25]
	v_add_co_ci_u32_e32 v38, vcc_lo, s3, v1, vcc_lo
	v_lshlrev_b64 v[0:1], 2, v[3:4]
	v_mov_b32_e32 v22, v33
	v_lshlrev_b64 v[2:3], 2, v[5:6]
	v_mov_b32_e32 v24, v34
	v_mov_b32_e32 v26, v35
	v_mov_b32_e32 v28, v36
	v_lshlrev_b64 v[4:5], 2, v[21:22]
	v_add_co_u32 v0, vcc_lo, v31, v0
	v_add_co_ci_u32_e32 v1, vcc_lo, v38, v1, vcc_lo
	v_lshlrev_b64 v[6:7], 2, v[23:24]
	v_add_co_u32 v2, vcc_lo, v31, v2
	v_add_co_ci_u32_e32 v3, vcc_lo, v38, v3, vcc_lo
	v_lshlrev_b64 v[21:22], 2, v[25:26]
	v_add_co_u32 v4, vcc_lo, v31, v4
	v_mov_b32_e32 v30, v37
	v_add_co_ci_u32_e32 v5, vcc_lo, v38, v5, vcc_lo
	v_lshlrev_b64 v[23:24], 2, v[27:28]
	v_add_co_u32 v6, vcc_lo, v31, v6
	v_add_co_ci_u32_e32 v7, vcc_lo, v38, v7, vcc_lo
	v_lshlrev_b64 v[25:26], 2, v[29:30]
	v_add_co_u32 v21, vcc_lo, v31, v21
	v_add_co_ci_u32_e32 v22, vcc_lo, v38, v22, vcc_lo
	v_add_co_u32 v23, vcc_lo, v31, v23
	v_add_co_ci_u32_e32 v24, vcc_lo, v38, v24, vcc_lo
	;; [unrolled: 2-line block ×3, first 2 shown]
	s_waitcnt vmcnt(1)
	v_lshrrev_b32_e32 v27, 16, v15
	v_lshrrev_b32_e32 v28, 16, v16
	;; [unrolled: 1-line block ×4, first 2 shown]
	v_mul_f16_e32 v31, v9, v15
	s_waitcnt vmcnt(0)
	v_lshrrev_b32_e32 v32, 16, v19
	v_lshrrev_b32_e32 v33, 16, v20
	v_mul_f16_e32 v34, v14, v20
	v_mul_f16_e32 v35, v10, v18
	;; [unrolled: 1-line block ×5, first 2 shown]
	s_waitcnt lgkmcnt(5)
	v_fmac_f16_e32 v31, v40, v27
	s_waitcnt lgkmcnt(3)
	v_fmac_f16_e32 v34, v42, v33
	;; [unrolled: 2-line block ×3, first 2 shown]
	v_fmac_f16_e32 v36, v39, v29
	v_fmac_f16_e32 v37, v41, v28
	v_fmac_f16_e32 v38, v43, v32
	v_mul_f16_e32 v14, v14, v33
	v_mul_f16_e32 v9, v9, v27
	;; [unrolled: 1-line block ×6, first 2 shown]
	v_sub_f16_e32 v27, v31, v34
	v_sub_f16_e32 v28, v35, v36
	;; [unrolled: 1-line block ×3, first 2 shown]
	v_fma_f16 v14, v42, v20, -v14
	v_fma_f16 v9, v40, v15, -v9
	;; [unrolled: 1-line block ×6, first 2 shown]
	v_add_f16_e32 v15, v31, v34
	v_add_f16_e32 v16, v35, v36
	v_add_f16_e32 v17, v37, v38
	v_sub_f16_e32 v18, v27, v28
	v_sub_f16_e32 v19, v28, v29
	v_add_f16_e32 v20, v28, v29
	v_add_f16_e32 v28, v9, v14
	;; [unrolled: 1-line block ×4, first 2 shown]
	v_sub_f16_e32 v32, v15, v16
	v_sub_f16_e32 v33, v16, v17
	v_add_f16_e32 v34, v15, v17
	v_sub_f16_e32 v9, v9, v14
	v_sub_f16_e32 v10, v10, v13
	;; [unrolled: 1-line block ×5, first 2 shown]
	v_mul_f16_e32 v14, 0x3846, v19
	v_add_f16_e32 v15, v27, v20
	v_sub_f16_e32 v19, v30, v31
	v_add_f16_e32 v20, v28, v31
	v_sub_f16_e32 v17, v28, v30
	v_mul_f16_e32 v27, 0x3a52, v32
	v_mul_f16_e32 v29, 0x2b26, v33
	v_add_f16_e32 v16, v16, v34
	v_sub_f16_e32 v33, v9, v10
	v_sub_f16_e32 v34, v10, v11
	v_add_f16_e32 v10, v10, v11
	v_mul_f16_e32 v35, 0xbb00, v12
	v_sub_f16_e32 v11, v11, v9
	v_mul_f16_e32 v19, 0x2b26, v19
	v_add_f16_e32 v20, v30, v20
	v_sub_f16_e32 v28, v31, v28
	v_fmamk_f16 v31, v18, 0xb574, v14
	v_mul_f16_e32 v36, 0x3a52, v17
	v_fmamk_f16 v30, v32, 0x3a52, v29
	v_add_f16_e32 v8, v8, v16
	v_mul_f16_e32 v32, 0x3846, v34
	v_add_f16_e32 v9, v9, v10
	v_fma_f16 v10, v18, 0x3574, -v35
	v_fma_f16 v18, v13, 0xb9e0, -v27
	v_mul_f16_e32 v27, 0xbb00, v11
	v_fma_f16 v12, v12, 0xbb00, -v14
	v_fmamk_f16 v14, v17, 0x3a52, v19
	s_waitcnt lgkmcnt(0)
	v_add_f16_e32 v17, v45, v20
	v_fma_f16 v13, v13, 0x39e0, -v29
	v_fmac_f16_e32 v31, 0xb70e, v15
	v_fmamk_f16 v16, v16, 0xbcab, v8
	v_fmamk_f16 v29, v33, 0xb574, v32
	v_fmac_f16_e32 v10, 0xb70e, v15
	v_fma_f16 v27, v33, 0x3574, -v27
	v_fmac_f16_e32 v12, 0xb70e, v15
	v_fma_f16 v11, v11, 0xbb00, -v32
	v_fmamk_f16 v15, v20, 0xbcab, v17
	v_fma_f16 v34, v28, 0xb9e0, -v36
	v_fma_f16 v19, v28, 0x39e0, -v19
	v_add_f16_e32 v20, v30, v16
	v_fmac_f16_e32 v29, 0xb70e, v9
	v_add_f16_e32 v18, v18, v16
	v_fmac_f16_e32 v27, 0xb70e, v9
	v_fmac_f16_e32 v11, 0xb70e, v9
	v_add_f16_e32 v9, v13, v16
	v_pack_b32_f16 v8, v8, v17
	v_add_f16_e32 v13, v14, v15
	v_add_f16_e32 v16, v34, v15
	;; [unrolled: 1-line block ×3, first 2 shown]
	v_sub_f16_e32 v17, v18, v27
	v_add_f16_e32 v19, v11, v9
	v_sub_f16_e32 v9, v9, v11
	v_add_f16_e32 v11, v27, v18
	v_add_f16_e32 v18, v29, v20
	global_store_dword v[0:1], v8, off
	v_sub_f16_e32 v1, v13, v31
	v_sub_f16_e32 v8, v16, v10
	v_add_f16_e32 v0, v31, v13
	v_add_f16_e32 v13, v12, v15
	v_sub_f16_e32 v12, v15, v12
	v_add_f16_e32 v10, v10, v16
	v_sub_f16_e32 v14, v20, v29
	v_pack_b32_f16 v1, v18, v1
	v_pack_b32_f16 v8, v11, v8
	;; [unrolled: 1-line block ×6, first 2 shown]
	global_store_dword v[2:3], v1, off
	global_store_dword v[4:5], v8, off
	;; [unrolled: 1-line block ×6, first 2 shown]
.LBB0_53:
	s_endpgm
	.section	.rodata,"a",@progbits
	.p2align	6, 0x0
	.amdhsa_kernel fft_rtc_back_len1568_factors_2_2_2_2_2_7_7_wgs_224_tpt_224_halfLds_half_ip_CI_sbrr_dirReg
		.amdhsa_group_segment_fixed_size 0
		.amdhsa_private_segment_fixed_size 0
		.amdhsa_kernarg_size 88
		.amdhsa_user_sgpr_count 6
		.amdhsa_user_sgpr_private_segment_buffer 1
		.amdhsa_user_sgpr_dispatch_ptr 0
		.amdhsa_user_sgpr_queue_ptr 0
		.amdhsa_user_sgpr_kernarg_segment_ptr 1
		.amdhsa_user_sgpr_dispatch_id 0
		.amdhsa_user_sgpr_flat_scratch_init 0
		.amdhsa_user_sgpr_private_segment_size 0
		.amdhsa_wavefront_size32 1
		.amdhsa_uses_dynamic_stack 0
		.amdhsa_system_sgpr_private_segment_wavefront_offset 0
		.amdhsa_system_sgpr_workgroup_id_x 1
		.amdhsa_system_sgpr_workgroup_id_y 0
		.amdhsa_system_sgpr_workgroup_id_z 0
		.amdhsa_system_sgpr_workgroup_info 0
		.amdhsa_system_vgpr_workitem_id 0
		.amdhsa_next_free_vgpr 46
		.amdhsa_next_free_sgpr 23
		.amdhsa_reserve_vcc 1
		.amdhsa_reserve_flat_scratch 0
		.amdhsa_float_round_mode_32 0
		.amdhsa_float_round_mode_16_64 0
		.amdhsa_float_denorm_mode_32 3
		.amdhsa_float_denorm_mode_16_64 3
		.amdhsa_dx10_clamp 1
		.amdhsa_ieee_mode 1
		.amdhsa_fp16_overflow 0
		.amdhsa_workgroup_processor_mode 1
		.amdhsa_memory_ordered 1
		.amdhsa_forward_progress 0
		.amdhsa_shared_vgpr_count 0
		.amdhsa_exception_fp_ieee_invalid_op 0
		.amdhsa_exception_fp_denorm_src 0
		.amdhsa_exception_fp_ieee_div_zero 0
		.amdhsa_exception_fp_ieee_overflow 0
		.amdhsa_exception_fp_ieee_underflow 0
		.amdhsa_exception_fp_ieee_inexact 0
		.amdhsa_exception_int_div_zero 0
	.end_amdhsa_kernel
	.text
.Lfunc_end0:
	.size	fft_rtc_back_len1568_factors_2_2_2_2_2_7_7_wgs_224_tpt_224_halfLds_half_ip_CI_sbrr_dirReg, .Lfunc_end0-fft_rtc_back_len1568_factors_2_2_2_2_2_7_7_wgs_224_tpt_224_halfLds_half_ip_CI_sbrr_dirReg
                                        ; -- End function
	.section	.AMDGPU.csdata,"",@progbits
; Kernel info:
; codeLenInByte = 7244
; NumSgprs: 25
; NumVgprs: 46
; ScratchSize: 0
; MemoryBound: 0
; FloatMode: 240
; IeeeMode: 1
; LDSByteSize: 0 bytes/workgroup (compile time only)
; SGPRBlocks: 3
; VGPRBlocks: 5
; NumSGPRsForWavesPerEU: 25
; NumVGPRsForWavesPerEU: 46
; Occupancy: 16
; WaveLimiterHint : 1
; COMPUTE_PGM_RSRC2:SCRATCH_EN: 0
; COMPUTE_PGM_RSRC2:USER_SGPR: 6
; COMPUTE_PGM_RSRC2:TRAP_HANDLER: 0
; COMPUTE_PGM_RSRC2:TGID_X_EN: 1
; COMPUTE_PGM_RSRC2:TGID_Y_EN: 0
; COMPUTE_PGM_RSRC2:TGID_Z_EN: 0
; COMPUTE_PGM_RSRC2:TIDIG_COMP_CNT: 0
	.text
	.p2alignl 6, 3214868480
	.fill 48, 4, 3214868480
	.type	__hip_cuid_303b51de4847af0f,@object ; @__hip_cuid_303b51de4847af0f
	.section	.bss,"aw",@nobits
	.globl	__hip_cuid_303b51de4847af0f
__hip_cuid_303b51de4847af0f:
	.byte	0                               ; 0x0
	.size	__hip_cuid_303b51de4847af0f, 1

	.ident	"AMD clang version 19.0.0git (https://github.com/RadeonOpenCompute/llvm-project roc-6.4.0 25133 c7fe45cf4b819c5991fe208aaa96edf142730f1d)"
	.section	".note.GNU-stack","",@progbits
	.addrsig
	.addrsig_sym __hip_cuid_303b51de4847af0f
	.amdgpu_metadata
---
amdhsa.kernels:
  - .args:
      - .actual_access:  read_only
        .address_space:  global
        .offset:         0
        .size:           8
        .value_kind:     global_buffer
      - .offset:         8
        .size:           8
        .value_kind:     by_value
      - .actual_access:  read_only
        .address_space:  global
        .offset:         16
        .size:           8
        .value_kind:     global_buffer
      - .actual_access:  read_only
        .address_space:  global
        .offset:         24
        .size:           8
        .value_kind:     global_buffer
      - .offset:         32
        .size:           8
        .value_kind:     by_value
      - .actual_access:  read_only
        .address_space:  global
        .offset:         40
        .size:           8
        .value_kind:     global_buffer
      - .actual_access:  read_only
        .address_space:  global
        .offset:         48
        .size:           8
        .value_kind:     global_buffer
      - .offset:         56
        .size:           4
        .value_kind:     by_value
      - .actual_access:  read_only
        .address_space:  global
        .offset:         64
        .size:           8
        .value_kind:     global_buffer
      - .actual_access:  read_only
        .address_space:  global
        .offset:         72
        .size:           8
        .value_kind:     global_buffer
      - .address_space:  global
        .offset:         80
        .size:           8
        .value_kind:     global_buffer
    .group_segment_fixed_size: 0
    .kernarg_segment_align: 8
    .kernarg_segment_size: 88
    .language:       OpenCL C
    .language_version:
      - 2
      - 0
    .max_flat_workgroup_size: 224
    .name:           fft_rtc_back_len1568_factors_2_2_2_2_2_7_7_wgs_224_tpt_224_halfLds_half_ip_CI_sbrr_dirReg
    .private_segment_fixed_size: 0
    .sgpr_count:     25
    .sgpr_spill_count: 0
    .symbol:         fft_rtc_back_len1568_factors_2_2_2_2_2_7_7_wgs_224_tpt_224_halfLds_half_ip_CI_sbrr_dirReg.kd
    .uniform_work_group_size: 1
    .uses_dynamic_stack: false
    .vgpr_count:     46
    .vgpr_spill_count: 0
    .wavefront_size: 32
    .workgroup_processor_mode: 1
amdhsa.target:   amdgcn-amd-amdhsa--gfx1030
amdhsa.version:
  - 1
  - 2
...

	.end_amdgpu_metadata
